;; amdgpu-corpus repo=ROCm/rocFFT kind=compiled arch=gfx1201 opt=O3
	.text
	.amdgcn_target "amdgcn-amd-amdhsa--gfx1201"
	.amdhsa_code_object_version 6
	.protected	fft_rtc_back_len1350_factors_5_10_3_3_3_wgs_135_tpt_135_halfLds_sp_op_CI_CI_unitstride_sbrr_C2R_dirReg ; -- Begin function fft_rtc_back_len1350_factors_5_10_3_3_3_wgs_135_tpt_135_halfLds_sp_op_CI_CI_unitstride_sbrr_C2R_dirReg
	.globl	fft_rtc_back_len1350_factors_5_10_3_3_3_wgs_135_tpt_135_halfLds_sp_op_CI_CI_unitstride_sbrr_C2R_dirReg
	.p2align	8
	.type	fft_rtc_back_len1350_factors_5_10_3_3_3_wgs_135_tpt_135_halfLds_sp_op_CI_CI_unitstride_sbrr_C2R_dirReg,@function
fft_rtc_back_len1350_factors_5_10_3_3_3_wgs_135_tpt_135_halfLds_sp_op_CI_CI_unitstride_sbrr_C2R_dirReg: ; @fft_rtc_back_len1350_factors_5_10_3_3_3_wgs_135_tpt_135_halfLds_sp_op_CI_CI_unitstride_sbrr_C2R_dirReg
; %bb.0:
	s_clause 0x2
	s_load_b128 s[8:11], s[0:1], 0x0
	s_load_b128 s[4:7], s[0:1], 0x58
	;; [unrolled: 1-line block ×3, first 2 shown]
	v_mul_u32_u24_e32 v1, 0x1e6, v0
	v_mov_b32_e32 v3, 0
	s_delay_alu instid0(VALU_DEP_2) | instskip(NEXT) | instid1(VALU_DEP_1)
	v_lshrrev_b32_e32 v1, 16, v1
	v_add_nc_u32_e32 v5, ttmp9, v1
	v_mov_b32_e32 v1, 0
	v_mov_b32_e32 v2, 0
	;; [unrolled: 1-line block ×3, first 2 shown]
	s_wait_kmcnt 0x0
	v_cmp_lt_u64_e64 s2, s[10:11], 2
	s_delay_alu instid0(VALU_DEP_1)
	s_and_b32 vcc_lo, exec_lo, s2
	s_cbranch_vccnz .LBB0_8
; %bb.1:
	s_load_b64 s[2:3], s[0:1], 0x10
	v_mov_b32_e32 v1, 0
	v_mov_b32_e32 v2, 0
	s_add_nc_u64 s[16:17], s[14:15], 8
	s_add_nc_u64 s[18:19], s[12:13], 8
	s_mov_b64 s[20:21], 1
	s_delay_alu instid0(VALU_DEP_1)
	v_dual_mov_b32 v17, v2 :: v_dual_mov_b32 v16, v1
	s_wait_kmcnt 0x0
	s_add_nc_u64 s[22:23], s[2:3], 8
	s_mov_b32 s3, 0
.LBB0_2:                                ; =>This Inner Loop Header: Depth=1
	s_load_b64 s[24:25], s[22:23], 0x0
                                        ; implicit-def: $vgpr20_vgpr21
	s_mov_b32 s2, exec_lo
	s_wait_kmcnt 0x0
	v_or_b32_e32 v4, s25, v6
	s_delay_alu instid0(VALU_DEP_1)
	v_cmpx_ne_u64_e32 0, v[3:4]
	s_wait_alu 0xfffe
	s_xor_b32 s26, exec_lo, s2
	s_cbranch_execz .LBB0_4
; %bb.3:                                ;   in Loop: Header=BB0_2 Depth=1
	s_cvt_f32_u32 s2, s24
	s_cvt_f32_u32 s27, s25
	s_sub_nc_u64 s[30:31], 0, s[24:25]
	s_wait_alu 0xfffe
	s_delay_alu instid0(SALU_CYCLE_1) | instskip(SKIP_1) | instid1(SALU_CYCLE_2)
	s_fmamk_f32 s2, s27, 0x4f800000, s2
	s_wait_alu 0xfffe
	v_s_rcp_f32 s2, s2
	s_delay_alu instid0(TRANS32_DEP_1) | instskip(SKIP_1) | instid1(SALU_CYCLE_2)
	s_mul_f32 s2, s2, 0x5f7ffffc
	s_wait_alu 0xfffe
	s_mul_f32 s27, s2, 0x2f800000
	s_wait_alu 0xfffe
	s_delay_alu instid0(SALU_CYCLE_2) | instskip(SKIP_1) | instid1(SALU_CYCLE_2)
	s_trunc_f32 s27, s27
	s_wait_alu 0xfffe
	s_fmamk_f32 s2, s27, 0xcf800000, s2
	s_cvt_u32_f32 s29, s27
	s_wait_alu 0xfffe
	s_delay_alu instid0(SALU_CYCLE_1) | instskip(SKIP_1) | instid1(SALU_CYCLE_2)
	s_cvt_u32_f32 s28, s2
	s_wait_alu 0xfffe
	s_mul_u64 s[34:35], s[30:31], s[28:29]
	s_wait_alu 0xfffe
	s_mul_hi_u32 s37, s28, s35
	s_mul_i32 s36, s28, s35
	s_mul_hi_u32 s2, s28, s34
	s_mul_i32 s33, s29, s34
	s_wait_alu 0xfffe
	s_add_nc_u64 s[36:37], s[2:3], s[36:37]
	s_mul_hi_u32 s27, s29, s34
	s_mul_hi_u32 s38, s29, s35
	s_add_co_u32 s2, s36, s33
	s_wait_alu 0xfffe
	s_add_co_ci_u32 s2, s37, s27
	s_mul_i32 s34, s29, s35
	s_add_co_ci_u32 s35, s38, 0
	s_wait_alu 0xfffe
	s_add_nc_u64 s[34:35], s[2:3], s[34:35]
	s_wait_alu 0xfffe
	v_add_co_u32 v4, s2, s28, s34
	s_delay_alu instid0(VALU_DEP_1) | instskip(SKIP_1) | instid1(VALU_DEP_1)
	s_cmp_lg_u32 s2, 0
	s_add_co_ci_u32 s29, s29, s35
	v_readfirstlane_b32 s28, v4
	s_wait_alu 0xfffe
	s_delay_alu instid0(VALU_DEP_1)
	s_mul_u64 s[30:31], s[30:31], s[28:29]
	s_wait_alu 0xfffe
	s_mul_hi_u32 s35, s28, s31
	s_mul_i32 s34, s28, s31
	s_mul_hi_u32 s2, s28, s30
	s_mul_i32 s33, s29, s30
	s_wait_alu 0xfffe
	s_add_nc_u64 s[34:35], s[2:3], s[34:35]
	s_mul_hi_u32 s27, s29, s30
	s_mul_hi_u32 s28, s29, s31
	s_wait_alu 0xfffe
	s_add_co_u32 s2, s34, s33
	s_add_co_ci_u32 s2, s35, s27
	s_mul_i32 s30, s29, s31
	s_add_co_ci_u32 s31, s28, 0
	s_wait_alu 0xfffe
	s_add_nc_u64 s[30:31], s[2:3], s[30:31]
	s_wait_alu 0xfffe
	v_add_co_u32 v4, s2, v4, s30
	s_delay_alu instid0(VALU_DEP_1) | instskip(SKIP_1) | instid1(VALU_DEP_1)
	s_cmp_lg_u32 s2, 0
	s_add_co_ci_u32 s2, s29, s31
	v_mul_hi_u32 v13, v5, v4
	s_wait_alu 0xfffe
	v_mad_co_u64_u32 v[7:8], null, v5, s2, 0
	v_mad_co_u64_u32 v[9:10], null, v6, v4, 0
	;; [unrolled: 1-line block ×3, first 2 shown]
	s_delay_alu instid0(VALU_DEP_3) | instskip(SKIP_1) | instid1(VALU_DEP_4)
	v_add_co_u32 v4, vcc_lo, v13, v7
	s_wait_alu 0xfffd
	v_add_co_ci_u32_e32 v7, vcc_lo, 0, v8, vcc_lo
	s_delay_alu instid0(VALU_DEP_2) | instskip(SKIP_1) | instid1(VALU_DEP_2)
	v_add_co_u32 v4, vcc_lo, v4, v9
	s_wait_alu 0xfffd
	v_add_co_ci_u32_e32 v4, vcc_lo, v7, v10, vcc_lo
	s_wait_alu 0xfffd
	v_add_co_ci_u32_e32 v7, vcc_lo, 0, v12, vcc_lo
	s_delay_alu instid0(VALU_DEP_2) | instskip(SKIP_1) | instid1(VALU_DEP_2)
	v_add_co_u32 v4, vcc_lo, v4, v11
	s_wait_alu 0xfffd
	v_add_co_ci_u32_e32 v9, vcc_lo, 0, v7, vcc_lo
	s_delay_alu instid0(VALU_DEP_2) | instskip(SKIP_1) | instid1(VALU_DEP_3)
	v_mul_lo_u32 v10, s25, v4
	v_mad_co_u64_u32 v[7:8], null, s24, v4, 0
	v_mul_lo_u32 v11, s24, v9
	s_delay_alu instid0(VALU_DEP_2) | instskip(NEXT) | instid1(VALU_DEP_2)
	v_sub_co_u32 v7, vcc_lo, v5, v7
	v_add3_u32 v8, v8, v11, v10
	s_delay_alu instid0(VALU_DEP_1) | instskip(SKIP_1) | instid1(VALU_DEP_1)
	v_sub_nc_u32_e32 v10, v6, v8
	s_wait_alu 0xfffd
	v_subrev_co_ci_u32_e64 v10, s2, s25, v10, vcc_lo
	v_add_co_u32 v11, s2, v4, 2
	s_wait_alu 0xf1ff
	v_add_co_ci_u32_e64 v12, s2, 0, v9, s2
	v_sub_co_u32 v13, s2, v7, s24
	v_sub_co_ci_u32_e32 v8, vcc_lo, v6, v8, vcc_lo
	s_wait_alu 0xf1ff
	v_subrev_co_ci_u32_e64 v10, s2, 0, v10, s2
	s_delay_alu instid0(VALU_DEP_3) | instskip(NEXT) | instid1(VALU_DEP_3)
	v_cmp_le_u32_e32 vcc_lo, s24, v13
	v_cmp_eq_u32_e64 s2, s25, v8
	s_wait_alu 0xfffd
	v_cndmask_b32_e64 v13, 0, -1, vcc_lo
	v_cmp_le_u32_e32 vcc_lo, s25, v10
	s_wait_alu 0xfffd
	v_cndmask_b32_e64 v14, 0, -1, vcc_lo
	v_cmp_le_u32_e32 vcc_lo, s24, v7
	;; [unrolled: 3-line block ×3, first 2 shown]
	s_wait_alu 0xfffd
	v_cndmask_b32_e64 v15, 0, -1, vcc_lo
	v_cmp_eq_u32_e32 vcc_lo, s25, v10
	s_wait_alu 0xf1ff
	s_delay_alu instid0(VALU_DEP_2)
	v_cndmask_b32_e64 v7, v15, v7, s2
	s_wait_alu 0xfffd
	v_cndmask_b32_e32 v10, v14, v13, vcc_lo
	v_add_co_u32 v13, vcc_lo, v4, 1
	s_wait_alu 0xfffd
	v_add_co_ci_u32_e32 v14, vcc_lo, 0, v9, vcc_lo
	s_delay_alu instid0(VALU_DEP_3) | instskip(SKIP_1) | instid1(VALU_DEP_2)
	v_cmp_ne_u32_e32 vcc_lo, 0, v10
	s_wait_alu 0xfffd
	v_cndmask_b32_e32 v8, v14, v12, vcc_lo
	v_cndmask_b32_e32 v10, v13, v11, vcc_lo
	v_cmp_ne_u32_e32 vcc_lo, 0, v7
	s_wait_alu 0xfffd
	s_delay_alu instid0(VALU_DEP_2)
	v_dual_cndmask_b32 v21, v9, v8 :: v_dual_cndmask_b32 v20, v4, v10
.LBB0_4:                                ;   in Loop: Header=BB0_2 Depth=1
	s_wait_alu 0xfffe
	s_and_not1_saveexec_b32 s2, s26
	s_cbranch_execz .LBB0_6
; %bb.5:                                ;   in Loop: Header=BB0_2 Depth=1
	v_cvt_f32_u32_e32 v4, s24
	s_sub_co_i32 s26, 0, s24
	v_mov_b32_e32 v21, v3
	s_delay_alu instid0(VALU_DEP_2) | instskip(NEXT) | instid1(TRANS32_DEP_1)
	v_rcp_iflag_f32_e32 v4, v4
	v_mul_f32_e32 v4, 0x4f7ffffe, v4
	s_delay_alu instid0(VALU_DEP_1) | instskip(SKIP_1) | instid1(VALU_DEP_1)
	v_cvt_u32_f32_e32 v4, v4
	s_wait_alu 0xfffe
	v_mul_lo_u32 v7, s26, v4
	s_delay_alu instid0(VALU_DEP_1) | instskip(NEXT) | instid1(VALU_DEP_1)
	v_mul_hi_u32 v7, v4, v7
	v_add_nc_u32_e32 v4, v4, v7
	s_delay_alu instid0(VALU_DEP_1) | instskip(NEXT) | instid1(VALU_DEP_1)
	v_mul_hi_u32 v4, v5, v4
	v_mul_lo_u32 v7, v4, s24
	v_add_nc_u32_e32 v8, 1, v4
	s_delay_alu instid0(VALU_DEP_2) | instskip(NEXT) | instid1(VALU_DEP_1)
	v_sub_nc_u32_e32 v7, v5, v7
	v_subrev_nc_u32_e32 v9, s24, v7
	v_cmp_le_u32_e32 vcc_lo, s24, v7
	s_wait_alu 0xfffd
	s_delay_alu instid0(VALU_DEP_2) | instskip(NEXT) | instid1(VALU_DEP_1)
	v_dual_cndmask_b32 v7, v7, v9 :: v_dual_cndmask_b32 v4, v4, v8
	v_cmp_le_u32_e32 vcc_lo, s24, v7
	s_delay_alu instid0(VALU_DEP_2) | instskip(SKIP_1) | instid1(VALU_DEP_1)
	v_add_nc_u32_e32 v8, 1, v4
	s_wait_alu 0xfffd
	v_cndmask_b32_e32 v20, v4, v8, vcc_lo
.LBB0_6:                                ;   in Loop: Header=BB0_2 Depth=1
	s_wait_alu 0xfffe
	s_or_b32 exec_lo, exec_lo, s2
	v_mul_lo_u32 v4, v21, s24
	s_delay_alu instid0(VALU_DEP_2)
	v_mul_lo_u32 v9, v20, s25
	s_load_b64 s[26:27], s[18:19], 0x0
	v_mad_co_u64_u32 v[7:8], null, v20, s24, 0
	s_load_b64 s[24:25], s[16:17], 0x0
	s_add_nc_u64 s[20:21], s[20:21], 1
	s_add_nc_u64 s[16:17], s[16:17], 8
	s_wait_alu 0xfffe
	v_cmp_ge_u64_e64 s2, s[20:21], s[10:11]
	s_add_nc_u64 s[18:19], s[18:19], 8
	s_add_nc_u64 s[22:23], s[22:23], 8
	v_add3_u32 v4, v8, v9, v4
	v_sub_co_u32 v5, vcc_lo, v5, v7
	s_wait_alu 0xfffd
	s_delay_alu instid0(VALU_DEP_2) | instskip(SKIP_2) | instid1(VALU_DEP_1)
	v_sub_co_ci_u32_e32 v4, vcc_lo, v6, v4, vcc_lo
	s_and_b32 vcc_lo, exec_lo, s2
	s_wait_kmcnt 0x0
	v_mul_lo_u32 v6, s26, v4
	v_mul_lo_u32 v7, s27, v5
	v_mad_co_u64_u32 v[1:2], null, s26, v5, v[1:2]
	v_mul_lo_u32 v4, s24, v4
	v_mul_lo_u32 v8, s25, v5
	v_mad_co_u64_u32 v[16:17], null, s24, v5, v[16:17]
	s_delay_alu instid0(VALU_DEP_4) | instskip(NEXT) | instid1(VALU_DEP_2)
	v_add3_u32 v2, v7, v2, v6
	v_add3_u32 v17, v8, v17, v4
	s_wait_alu 0xfffe
	s_cbranch_vccnz .LBB0_9
; %bb.7:                                ;   in Loop: Header=BB0_2 Depth=1
	v_dual_mov_b32 v5, v20 :: v_dual_mov_b32 v6, v21
	s_branch .LBB0_2
.LBB0_8:
	v_dual_mov_b32 v17, v2 :: v_dual_mov_b32 v16, v1
	v_dual_mov_b32 v21, v6 :: v_dual_mov_b32 v20, v5
.LBB0_9:
	s_load_b64 s[0:1], s[0:1], 0x28
	v_mul_hi_u32 v3, 0x1e573ad, v0
	s_lshl_b64 s[10:11], s[10:11], 3
                                        ; implicit-def: $vgpr18
	s_wait_alu 0xfffe
	s_add_nc_u64 s[2:3], s[14:15], s[10:11]
	s_wait_kmcnt 0x0
	v_cmp_gt_u64_e32 vcc_lo, s[0:1], v[20:21]
	v_cmp_le_u64_e64 s0, s[0:1], v[20:21]
	s_delay_alu instid0(VALU_DEP_1)
	s_and_saveexec_b32 s1, s0
	s_wait_alu 0xfffe
	s_xor_b32 s0, exec_lo, s1
; %bb.10:
	v_mul_u32_u24_e32 v1, 0x87, v3
                                        ; implicit-def: $vgpr3
	s_delay_alu instid0(VALU_DEP_1)
	v_sub_nc_u32_e32 v18, v0, v1
                                        ; implicit-def: $vgpr0
                                        ; implicit-def: $vgpr1_vgpr2
; %bb.11:
	s_wait_alu 0xfffe
	s_or_saveexec_b32 s1, s0
	s_load_b64 s[2:3], s[2:3], 0x0
	s_xor_b32 exec_lo, exec_lo, s1
	s_cbranch_execz .LBB0_15
; %bb.12:
	s_add_nc_u64 s[10:11], s[12:13], s[10:11]
	v_lshlrev_b64_e32 v[1:2], 3, v[1:2]
	s_load_b64 s[10:11], s[10:11], 0x0
	s_wait_kmcnt 0x0
	v_mul_lo_u32 v6, s11, v20
	v_mul_lo_u32 v7, s10, v21
	v_mad_co_u64_u32 v[4:5], null, s10, v20, 0
	s_delay_alu instid0(VALU_DEP_1) | instskip(SKIP_1) | instid1(VALU_DEP_2)
	v_add3_u32 v5, v5, v7, v6
	v_mul_u32_u24_e32 v6, 0x87, v3
	v_lshlrev_b64_e32 v[3:4], 3, v[4:5]
	s_delay_alu instid0(VALU_DEP_2) | instskip(NEXT) | instid1(VALU_DEP_1)
	v_sub_nc_u32_e32 v18, v0, v6
	v_lshlrev_b32_e32 v19, 3, v18
	s_delay_alu instid0(VALU_DEP_3) | instskip(SKIP_1) | instid1(VALU_DEP_4)
	v_add_co_u32 v0, s0, s4, v3
	s_wait_alu 0xf1ff
	v_add_co_ci_u32_e64 v3, s0, s5, v4, s0
	s_mov_b32 s4, exec_lo
	s_delay_alu instid0(VALU_DEP_2) | instskip(SKIP_1) | instid1(VALU_DEP_2)
	v_add_co_u32 v0, s0, v0, v1
	s_wait_alu 0xf1ff
	v_add_co_ci_u32_e64 v1, s0, v3, v2, s0
	s_delay_alu instid0(VALU_DEP_2) | instskip(SKIP_1) | instid1(VALU_DEP_2)
	v_add_co_u32 v2, s0, v0, v19
	s_wait_alu 0xf1ff
	v_add_co_ci_u32_e64 v3, s0, 0, v1, s0
	s_clause 0x9
	global_load_b64 v[4:5], v[2:3], off
	global_load_b64 v[6:7], v[2:3], off offset:1080
	global_load_b64 v[8:9], v[2:3], off offset:2160
	;; [unrolled: 1-line block ×9, first 2 shown]
	v_add_nc_u32_e32 v19, 0, v19
	s_delay_alu instid0(VALU_DEP_1)
	v_add_nc_u32_e32 v28, 0x800, v19
	v_add_nc_u32_e32 v29, 0x1000, v19
	;; [unrolled: 1-line block ×4, first 2 shown]
	s_wait_loadcnt 0x8
	ds_store_2addr_b64 v19, v[4:5], v[6:7] offset1:135
	s_wait_loadcnt 0x6
	ds_store_2addr_b64 v28, v[8:9], v[10:11] offset0:14 offset1:149
	s_wait_loadcnt 0x4
	ds_store_2addr_b64 v29, v[12:13], v[14:15] offset0:28 offset1:163
	;; [unrolled: 2-line block ×4, first 2 shown]
	v_cmpx_eq_u32_e32 0x86, v18
	s_cbranch_execz .LBB0_14
; %bb.13:
	global_load_b64 v[0:1], v[0:1], off offset:10800
	v_mov_b32_e32 v2, 0
	v_mov_b32_e32 v18, 0x86
	s_wait_loadcnt 0x0
	ds_store_b64 v2, v[0:1] offset:10800
.LBB0_14:
	s_wait_alu 0xfffe
	s_or_b32 exec_lo, exec_lo, s4
.LBB0_15:
	s_delay_alu instid0(SALU_CYCLE_1)
	s_or_b32 exec_lo, exec_lo, s1
	v_lshlrev_b32_e32 v0, 3, v18
	global_wb scope:SCOPE_SE
	s_wait_dscnt 0x0
	s_wait_kmcnt 0x0
	s_barrier_signal -1
	s_barrier_wait -1
	global_inv scope:SCOPE_SE
	v_add_nc_u32_e32 v32, 0, v0
	v_sub_nc_u32_e32 v4, 0, v0
	s_mov_b32 s1, exec_lo
                                        ; implicit-def: $vgpr2_vgpr3
	ds_load_b32 v5, v32
	ds_load_b32 v6, v4 offset:10800
	s_wait_dscnt 0x0
	v_dual_sub_f32 v1, v5, v6 :: v_dual_add_f32 v0, v6, v5
	v_cmpx_ne_u32_e32 0, v18
	s_wait_alu 0xfffe
	s_xor_b32 s1, exec_lo, s1
	s_cbranch_execz .LBB0_17
; %bb.16:
	v_dual_mov_b32 v19, 0 :: v_dual_sub_f32 v8, v5, v6
	s_delay_alu instid0(VALU_DEP_1) | instskip(NEXT) | instid1(VALU_DEP_1)
	v_lshlrev_b64_e32 v[0:1], 3, v[18:19]
	v_add_co_u32 v0, s0, s8, v0
	s_wait_alu 0xf1ff
	s_delay_alu instid0(VALU_DEP_2)
	v_add_co_ci_u32_e64 v1, s0, s9, v1, s0
	global_load_b64 v[2:3], v[0:1], off offset:10760
	ds_load_b32 v0, v4 offset:10804
	ds_load_b32 v1, v32 offset:4
	v_add_f32_e32 v7, v6, v5
	s_wait_dscnt 0x0
	v_dual_add_f32 v9, v0, v1 :: v_dual_sub_f32 v0, v1, v0
	s_wait_loadcnt 0x0
	s_delay_alu instid0(VALU_DEP_2) | instskip(NEXT) | instid1(VALU_DEP_2)
	v_fma_f32 v5, -v8, v3, v7
	v_fma_f32 v6, v9, v3, -v0
	v_fma_f32 v10, v8, v3, v7
	v_fma_f32 v1, v9, v3, v0
	s_delay_alu instid0(VALU_DEP_3) | instskip(NEXT) | instid1(VALU_DEP_3)
	v_dual_fmac_f32 v5, v2, v9 :: v_dual_fmac_f32 v6, v8, v2
	v_fma_f32 v0, -v2, v9, v10
	s_delay_alu instid0(VALU_DEP_3)
	v_dual_fmac_f32 v1, v8, v2 :: v_dual_mov_b32 v2, v18
	v_mov_b32_e32 v3, v19
	ds_store_b64 v4, v[5:6] offset:10800
.LBB0_17:
	s_wait_alu 0xfffe
	s_and_not1_saveexec_b32 s0, s1
	s_cbranch_execz .LBB0_19
; %bb.18:
	v_mov_b32_e32 v7, 0
	ds_load_b64 v[2:3], v7 offset:5400
	s_wait_dscnt 0x0
	v_dual_mul_f32 v6, -2.0, v3 :: v_dual_add_f32 v5, v2, v2
	v_mov_b32_e32 v2, 0
	v_mov_b32_e32 v3, 0
	ds_store_b64 v7, v[5:6] offset:5400
.LBB0_19:
	s_wait_alu 0xfffe
	s_or_b32 exec_lo, exec_lo, s0
	v_lshlrev_b64_e32 v[2:3], 3, v[2:3]
	s_add_nc_u64 s[0:1], s[8:9], 0x2a08
	v_lshl_add_u32 v37, v18, 5, v32
	v_add_nc_u32_e32 v30, 0x2000, v32
	s_wait_alu 0xfffe
	s_delay_alu instid0(VALU_DEP_3)
	v_add_co_u32 v2, s0, s0, v2
	s_wait_alu 0xf1ff
	v_add_co_ci_u32_e64 v3, s0, s1, v3, s0
	s_clause 0x3
	global_load_b64 v[5:6], v[2:3], off offset:1080
	global_load_b64 v[7:8], v[2:3], off offset:2160
	global_load_b64 v[9:10], v[2:3], off offset:3240
	global_load_b64 v[2:3], v[2:3], off offset:4320
	ds_store_b64 v32, v[0:1]
	ds_load_b64 v[0:1], v32 offset:1080
	ds_load_b64 v[11:12], v4 offset:9720
	v_cmp_gt_u32_e64 s0, 45, v18
	s_wait_dscnt 0x0
	v_add_f32_e32 v13, v0, v11
	v_add_f32_e32 v14, v12, v1
	v_dual_sub_f32 v15, v0, v11 :: v_dual_sub_f32 v0, v1, v12
	s_wait_loadcnt 0x3
	s_delay_alu instid0(VALU_DEP_1) | instskip(NEXT) | instid1(VALU_DEP_2)
	v_fma_f32 v19, v15, v6, v13
	v_fma_f32 v1, v14, v6, v0
	v_fma_f32 v11, -v15, v6, v13
	v_fma_f32 v12, v14, v6, -v0
	s_delay_alu instid0(VALU_DEP_4) | instskip(NEXT) | instid1(VALU_DEP_4)
	v_fma_f32 v0, -v5, v14, v19
	v_fmac_f32_e32 v1, v15, v5
	s_delay_alu instid0(VALU_DEP_3)
	v_dual_fmac_f32 v11, v5, v14 :: v_dual_fmac_f32 v12, v15, v5
	ds_store_b64 v32, v[0:1] offset:1080
	ds_store_b64 v4, v[11:12] offset:9720
	ds_load_b64 v[0:1], v32 offset:2160
	ds_load_b64 v[5:6], v4 offset:8640
	v_add_nc_u32_e32 v15, 0x1800, v32
	s_wait_dscnt 0x0
	v_add_f32_e32 v11, v0, v5
	v_add_f32_e32 v12, v6, v1
	v_dual_sub_f32 v13, v0, v5 :: v_dual_sub_f32 v0, v1, v6
	s_wait_loadcnt 0x2
	s_delay_alu instid0(VALU_DEP_1) | instskip(NEXT) | instid1(VALU_DEP_2)
	v_fma_f32 v14, v13, v8, v11
	v_fma_f32 v1, v12, v8, v0
	v_fma_f32 v5, -v13, v8, v11
	v_fma_f32 v6, v12, v8, -v0
	s_delay_alu instid0(VALU_DEP_4) | instskip(NEXT) | instid1(VALU_DEP_4)
	v_fma_f32 v0, -v7, v12, v14
	v_fmac_f32_e32 v1, v13, v7
	s_delay_alu instid0(VALU_DEP_3)
	v_dual_fmac_f32 v5, v7, v12 :: v_dual_fmac_f32 v6, v13, v7
	ds_store_b64 v32, v[0:1] offset:2160
	ds_store_b64 v4, v[5:6] offset:8640
	ds_load_b64 v[0:1], v32 offset:3240
	ds_load_b64 v[5:6], v4 offset:7560
	s_wait_dscnt 0x0
	v_add_f32_e32 v8, v6, v1
	v_add_f32_e32 v7, v0, v5
	v_dual_sub_f32 v11, v0, v5 :: v_dual_sub_f32 v0, v1, v6
	s_wait_loadcnt 0x1
	s_delay_alu instid0(VALU_DEP_1) | instskip(NEXT) | instid1(VALU_DEP_2)
	v_fma_f32 v12, v11, v10, v7
	v_fma_f32 v1, v8, v10, v0
	v_fma_f32 v6, v8, v10, -v0
	s_delay_alu instid0(VALU_DEP_3) | instskip(SKIP_3) | instid1(VALU_DEP_2)
	v_fma_f32 v0, -v9, v8, v12
	v_add_nc_u32_e32 v12, 0x1000, v32
	v_fma_f32 v5, -v11, v10, v7
	v_fmac_f32_e32 v1, v11, v9
	v_dual_fmac_f32 v6, v11, v9 :: v_dual_fmac_f32 v5, v9, v8
	ds_store_b64 v32, v[0:1] offset:3240
	ds_store_b64 v4, v[5:6] offset:7560
	ds_load_b64 v[0:1], v32 offset:4320
	ds_load_b64 v[5:6], v4 offset:6480
	s_wait_dscnt 0x0
	v_dual_add_f32 v8, v0, v5 :: v_dual_and_b32 v19, 0xff, v18
	s_delay_alu instid0(VALU_DEP_1) | instskip(SKIP_3) | instid1(VALU_DEP_4)
	v_mul_lo_u16 v7, 0xcd, v19
	v_add_f32_e32 v9, v6, v1
	v_dual_sub_f32 v10, v0, v5 :: v_dual_sub_f32 v1, v1, v6
	v_add_nc_u32_e32 v0, 0x800, v32
	v_lshrrev_b16 v11, 10, v7
	s_wait_loadcnt 0x0
	s_delay_alu instid0(VALU_DEP_3)
	v_fma_f32 v5, v10, v3, v8
	v_fma_f32 v6, v9, v3, v1
	v_fma_f32 v7, -v10, v3, v8
	v_fma_f32 v8, v9, v3, -v1
	v_mul_lo_u16 v1, v11, 5
	v_fma_f32 v5, -v2, v9, v5
	v_fmac_f32_e32 v6, v10, v2
	v_fmac_f32_e32 v7, v2, v9
	;; [unrolled: 1-line block ×3, first 2 shown]
	v_sub_nc_u16 v9, v18, v1
	ds_store_b64 v32, v[5:6] offset:4320
	ds_store_b64 v4, v[7:8] offset:6480
	global_wb scope:SCOPE_SE
	s_wait_dscnt 0x0
	s_barrier_signal -1
	s_barrier_wait -1
	global_inv scope:SCOPE_SE
	global_wb scope:SCOPE_SE
	s_barrier_signal -1
	s_barrier_wait -1
	global_inv scope:SCOPE_SE
	ds_load_2addr_b64 v[1:4], v32 offset1:135
	ds_load_2addr_b64 v[5:8], v0 offset0:14 offset1:149
	ds_load_2addr_b64 v[22:25], v12 offset0:28 offset1:163
	;; [unrolled: 1-line block ×4, first 2 shown]
	v_and_b32_e32 v31, 0xff, v9
	v_add_nc_u32_e32 v39, 0x1528, v37
	v_add_nc_u32_e32 v38, 0x1518, v37
	global_wb scope:SCOPE_SE
	s_wait_dscnt 0x0
	s_barrier_signal -1
	s_barrier_wait -1
	global_inv scope:SCOPE_SE
	v_add_f32_e32 v46, v2, v6
	v_dual_sub_f32 v44, v22, v5 :: v_dual_add_f32 v47, v23, v27
	v_add_f32_e32 v10, v22, v26
	v_mul_u32_u24_e32 v9, 9, v31
	v_dual_add_f32 v43, v5, v33 :: v_dual_sub_f32 v50, v6, v23
	v_dual_add_f32 v52, v6, v34 :: v_dual_add_f32 v55, v3, v7
	s_delay_alu instid0(VALU_DEP_3)
	v_dual_sub_f32 v13, v5, v22 :: v_dual_lshlrev_b32 v40, 3, v9
	v_add_f32_e32 v9, v1, v5
	v_dual_sub_f32 v14, v33, v26 :: v_dual_sub_f32 v45, v26, v33
	v_dual_sub_f32 v54, v27, v34 :: v_dual_sub_f32 v51, v34, v27
	v_dual_add_f32 v56, v24, v28 :: v_dual_add_f32 v61, v7, v35
	v_dual_add_f32 v64, v4, v8 :: v_dual_add_f32 v65, v25, v29
	v_add_f32_e32 v70, v8, v36
	v_dual_sub_f32 v59, v7, v24 :: v_dual_sub_f32 v62, v24, v7
	v_dual_sub_f32 v60, v35, v28 :: v_dual_sub_f32 v63, v28, v35
	;; [unrolled: 1-line block ×3, first 2 shown]
	v_sub_f32_e32 v49, v22, v26
	v_dual_sub_f32 v53, v23, v6 :: v_dual_sub_f32 v58, v25, v29
	v_sub_f32_e32 v67, v24, v28
	v_dual_sub_f32 v68, v8, v25 :: v_dual_sub_f32 v71, v25, v8
	v_dual_sub_f32 v69, v36, v29 :: v_dual_sub_f32 v72, v29, v36
	v_add_f32_e32 v9, v9, v22
	v_fma_f32 v5, -0.5, v10, v1
	v_add_f32_e32 v10, v46, v23
	v_fma_f32 v6, -0.5, v47, v2
	v_sub_f32_e32 v42, v23, v27
	v_fma_f32 v1, -0.5, v43, v1
	v_fma_f32 v2, -0.5, v52, v2
	v_dual_sub_f32 v57, v8, v36 :: v_dual_sub_f32 v66, v7, v35
	v_dual_add_f32 v73, v13, v14 :: v_dual_add_f32 v22, v55, v24
	v_dual_add_f32 v43, v44, v45 :: v_dual_add_f32 v46, v59, v60
	v_add_f32_e32 v44, v50, v51
	v_fma_f32 v7, -0.5, v56, v3
	v_fma_f32 v3, -0.5, v61, v3
	v_dual_add_f32 v23, v64, v25 :: v_dual_add_f32 v26, v9, v26
	v_fma_f32 v8, -0.5, v65, v4
	v_dual_add_f32 v47, v62, v63 :: v_dual_fmac_f32 v4, -0.5, v70
	v_add_f32_e32 v51, v71, v72
	v_fmamk_f32 v9, v41, 0xbf737871, v5
	v_dual_fmac_f32 v5, 0x3f737871, v41 :: v_dual_add_f32 v28, v22, v28
	v_dual_add_f32 v27, v10, v27 :: v_dual_fmamk_f32 v22, v57, 0xbf737871, v7
	v_dual_fmamk_f32 v10, v48, 0x3f737871, v6 :: v_dual_fmamk_f32 v13, v42, 0x3f737871, v1
	v_dual_fmac_f32 v1, 0xbf737871, v42 :: v_dual_fmamk_f32 v14, v49, 0xbf737871, v2
	v_fmac_f32_e32 v2, 0x3f737871, v49
	v_dual_fmamk_f32 v24, v58, 0x3f737871, v3 :: v_dual_add_f32 v29, v23, v29
	v_dual_fmamk_f32 v23, v66, 0x3f737871, v8 :: v_dual_add_f32 v28, v28, v35
	v_fmac_f32_e32 v7, 0x3f737871, v57
	v_dual_fmac_f32 v3, 0xbf737871, v58 :: v_dual_add_f32 v26, v26, v33
	v_fmamk_f32 v25, v67, 0xbf737871, v4
	v_fmac_f32_e32 v4, 0x3f737871, v67
	v_fmac_f32_e32 v6, 0xbf737871, v48
	v_dual_fmac_f32 v8, 0xbf737871, v66 :: v_dual_add_f32 v29, v29, v36
	v_fmac_f32_e32 v9, 0xbf167918, v42
	v_dual_fmac_f32 v5, 0x3f167918, v42 :: v_dual_fmac_f32 v10, 0x3f167918, v49
	v_dual_add_f32 v45, v53, v54 :: v_dual_add_f32 v50, v68, v69
	v_dual_fmac_f32 v13, 0xbf167918, v41 :: v_dual_fmac_f32 v2, 0xbf167918, v48
	v_dual_fmac_f32 v1, 0x3f167918, v41 :: v_dual_fmac_f32 v14, 0x3f167918, v48
	v_fmac_f32_e32 v22, 0xbf167918, v58
	v_fmac_f32_e32 v23, 0x3f167918, v67
	v_dual_add_f32 v27, v27, v34 :: v_dual_fmac_f32 v24, 0xbf167918, v57
	v_fmac_f32_e32 v7, 0x3f167918, v58
	v_fmac_f32_e32 v3, 0x3f167918, v57
	;; [unrolled: 1-line block ×6, first 2 shown]
	v_dual_fmac_f32 v9, 0x3e9e377a, v73 :: v_dual_fmac_f32 v10, 0x3e9e377a, v44
	v_dual_fmac_f32 v13, 0x3e9e377a, v43 :: v_dual_fmac_f32 v14, 0x3e9e377a, v45
	;; [unrolled: 1-line block ×8, first 2 shown]
	ds_store_2addr_b64 v37, v[26:27], v[9:10] offset1:1
	ds_store_2addr_b64 v37, v[13:14], v[1:2] offset0:2 offset1:3
	ds_store_2addr_b64 v38, v[28:29], v[22:23] offset1:1
	ds_store_2addr_b64 v39, v[24:25], v[3:4] offset1:1
	ds_store_b64 v37, v[5:6] offset:32
	ds_store_b64 v37, v[7:8] offset:5432
	global_wb scope:SCOPE_SE
	s_wait_dscnt 0x0
	s_barrier_signal -1
	s_barrier_wait -1
	global_inv scope:SCOPE_SE
	s_clause 0x4
	global_load_b128 v[1:4], v40, s[8:9]
	global_load_b128 v[5:8], v40, s[8:9] offset:16
	global_load_b128 v[22:25], v40, s[8:9] offset:32
	;; [unrolled: 1-line block ×3, first 2 shown]
	global_load_b64 v[9:10], v40, s[8:9] offset:64
	ds_load_2addr_b64 v[33:36], v32 offset1:135
	ds_load_2addr_b64 v[37:40], v0 offset0:14 offset1:149
	ds_load_2addr_b64 v[41:44], v12 offset0:28 offset1:163
	;; [unrolled: 1-line block ×4, first 2 shown]
	v_and_b32_e32 v11, 0xffff, v11
	v_lshlrev_b32_e32 v13, 3, v31
	v_add_nc_u32_e32 v15, 0x1c00, v32
	global_wb scope:SCOPE_SE
	s_wait_loadcnt_dscnt 0x0
	s_barrier_signal -1
	s_barrier_wait -1
	global_inv scope:SCOPE_SE
	v_mul_f32_e32 v14, v4, v38
	v_mul_f32_e32 v31, v8, v42
	;; [unrolled: 1-line block ×4, first 2 shown]
	v_mul_u32_u24_e32 v11, 0x190, v11
	v_mul_f32_e32 v4, v4, v37
	v_mul_f32_e32 v54, v46, v25
	v_mul_f32_e32 v30, v6, v40
	v_mul_f32_e32 v6, v6, v39
	v_add3_u32 v11, 0, v11, v13
	v_mul_f32_e32 v13, v2, v36
	v_dual_mul_f32 v2, v2, v35 :: v_dual_mul_f32 v53, v23, v44
	v_dual_mul_f32 v23, v23, v43 :: v_dual_fmac_f32 v54, v45, v24
	v_mul_f32_e32 v25, v45, v25
	v_dual_mul_f32 v55, v48, v27 :: v_dual_fmac_f32 v14, v3, v37
	v_dual_mul_f32 v27, v47, v27 :: v_dual_fmac_f32 v56, v49, v28
	;; [unrolled: 1-line block ×4, first 2 shown]
	v_fma_f32 v35, v1, v36, -v2
	v_fma_f32 v1, v3, v38, -v4
	v_fmac_f32_e32 v31, v7, v41
	v_mul_f32_e32 v29, v49, v29
	v_fma_f32 v2, v5, v40, -v6
	v_fma_f32 v3, v7, v42, -v8
	;; [unrolled: 1-line block ×4, first 2 shown]
	v_add_f32_e32 v10, v31, v54
	v_fma_f32 v7, v50, v28, -v29
	s_delay_alu instid0(VALU_DEP_4)
	v_dual_fmac_f32 v53, v22, v43 :: v_dual_add_f32 v36, v3, v5
	v_fma_f32 v4, v22, v44, -v23
	v_fma_f32 v6, v48, v26, -v27
	v_dual_fmac_f32 v57, v51, v9 :: v_dual_sub_f32 v28, v54, v56
	v_add_f32_e32 v9, v33, v14
	v_dual_sub_f32 v22, v1, v7 :: v_dual_fmac_f32 v55, v47, v26
	v_dual_sub_f32 v24, v14, v31 :: v_dual_sub_f32 v25, v56, v54
	v_add_f32_e32 v40, v1, v7
	v_dual_add_f32 v26, v14, v56 :: v_dual_sub_f32 v23, v3, v5
	v_dual_sub_f32 v38, v1, v3 :: v_dual_sub_f32 v27, v31, v14
	v_sub_f32_e32 v44, v2, v8
	v_dual_add_f32 v29, v34, v1 :: v_dual_add_f32 v42, v13, v30
	v_dual_sub_f32 v14, v14, v56 :: v_dual_sub_f32 v37, v31, v54
	v_sub_f32_e32 v46, v30, v53
	v_dual_sub_f32 v39, v7, v5 :: v_dual_add_f32 v52, v4, v6
	v_dual_sub_f32 v47, v57, v55 :: v_dual_sub_f32 v60, v8, v6
	v_add_f32_e32 v51, v35, v2
	v_sub_f32_e32 v59, v2, v4
	v_add_f32_e32 v9, v9, v31
	v_fma_f32 v31, -0.5, v10, v33
	v_add_f32_e32 v10, v24, v25
	v_fma_f32 v24, -0.5, v26, v33
	v_fma_f32 v33, -0.5, v36, v34
	v_dual_sub_f32 v1, v3, v1 :: v_dual_sub_f32 v58, v53, v55
	v_dual_sub_f32 v41, v5, v7 :: v_dual_add_f32 v48, v30, v57
	v_dual_add_f32 v43, v53, v55 :: v_dual_sub_f32 v50, v55, v57
	v_sub_f32_e32 v45, v4, v6
	v_dual_sub_f32 v49, v53, v30 :: v_dual_sub_f32 v62, v6, v8
	v_sub_f32_e32 v30, v30, v57
	v_dual_add_f32 v61, v2, v8 :: v_dual_sub_f32 v2, v4, v2
	s_delay_alu instid0(VALU_DEP_3) | instskip(SKIP_1) | instid1(VALU_DEP_3)
	v_dual_add_f32 v36, v49, v50 :: v_dual_add_f32 v25, v27, v28
	v_add_f32_e32 v26, v38, v39
	v_dual_add_f32 v3, v29, v3 :: v_dual_add_f32 v2, v2, v62
	v_fma_f32 v29, -0.5, v40, v34
	v_dual_add_f32 v27, v42, v53 :: v_dual_add_f32 v4, v51, v4
	v_fma_f32 v38, -0.5, v52, v35
	v_dual_add_f32 v39, v59, v60 :: v_dual_fmamk_f32 v40, v22, 0xbf737871, v31
	v_dual_add_f32 v9, v9, v54 :: v_dual_fmamk_f32 v42, v14, 0x3f737871, v33
	v_fmac_f32_e32 v31, 0x3f737871, v22
	v_dual_add_f32 v1, v1, v41 :: v_dual_add_f32 v34, v46, v47
	v_fma_f32 v28, -0.5, v43, v13
	v_dual_fmac_f32 v13, -0.5, v48 :: v_dual_add_f32 v4, v4, v6
	v_fmac_f32_e32 v35, -0.5, v61
	v_fmamk_f32 v41, v23, 0x3f737871, v24
	v_fmac_f32_e32 v24, 0xbf737871, v23
	s_delay_alu instid0(VALU_DEP_4)
	v_dual_fmamk_f32 v46, v45, 0x3f737871, v13 :: v_dual_add_f32 v3, v3, v5
	v_dual_fmac_f32 v33, 0xbf737871, v14 :: v_dual_add_f32 v4, v4, v8
	v_fmamk_f32 v6, v30, 0x3f737871, v38
	v_fmac_f32_e32 v38, 0xbf737871, v30
	v_dual_fmac_f32 v31, 0x3f167918, v23 :: v_dual_fmac_f32 v42, 0x3f167918, v37
	v_dual_add_f32 v5, v27, v55 :: v_dual_fmac_f32 v24, 0x3f167918, v22
	s_delay_alu instid0(VALU_DEP_3) | instskip(NEXT) | instid1(VALU_DEP_3)
	v_dual_fmac_f32 v33, 0xbf167918, v37 :: v_dual_fmac_f32 v38, 0xbf167918, v58
	v_fmac_f32_e32 v42, 0x3e9e377a, v26
	v_fmamk_f32 v27, v44, 0xbf737871, v28
	v_fmac_f32_e32 v28, 0x3f737871, v44
	v_fmamk_f32 v47, v58, 0xbf737871, v35
	v_add_f32_e32 v7, v3, v7
	v_dual_fmac_f32 v31, 0x3e9e377a, v10 :: v_dual_fmac_f32 v24, 0x3e9e377a, v25
	s_delay_alu instid0(VALU_DEP_3)
	v_dual_fmac_f32 v28, 0x3f167918, v45 :: v_dual_fmac_f32 v47, 0x3f167918, v30
	v_fmac_f32_e32 v38, 0x3e9e377a, v39
	v_fmamk_f32 v43, v37, 0xbf737871, v29
	v_fmac_f32_e32 v29, 0x3f737871, v37
	v_dual_fmac_f32 v41, 0xbf167918, v22 :: v_dual_fmac_f32 v46, 0xbf167918, v44
	v_fmac_f32_e32 v28, 0x3e9e377a, v34
	v_fmac_f32_e32 v47, 0x3e9e377a, v2
	v_mul_f32_e32 v37, 0xbf4f1bbd, v38
	s_delay_alu instid0(VALU_DEP_4) | instskip(SKIP_1) | instid1(VALU_DEP_3)
	v_dual_fmac_f32 v33, 0x3e9e377a, v26 :: v_dual_fmac_f32 v46, 0x3e9e377a, v36
	v_dual_add_f32 v9, v9, v56 :: v_dual_fmac_f32 v40, 0xbf167918, v23
	v_fmac_f32_e32 v37, 0x3f167918, v28
	v_fmac_f32_e32 v35, 0x3f737871, v58
	v_mul_f32_e32 v23, 0xbf737871, v47
	v_dual_add_f32 v3, v5, v57 :: v_dual_fmac_f32 v6, 0x3f167918, v58
	v_dual_fmac_f32 v40, 0x3e9e377a, v10 :: v_dual_fmac_f32 v41, 0x3e9e377a, v25
	s_delay_alu instid0(VALU_DEP_4) | instskip(NEXT) | instid1(VALU_DEP_3)
	v_fmac_f32_e32 v35, 0xbf167918, v30
	v_dual_fmac_f32 v23, 0x3e9e377a, v46 :: v_dual_fmac_f32 v6, 0x3e9e377a, v39
	v_dual_fmac_f32 v27, 0xbf167918, v45 :: v_dual_mul_f32 v30, 0xbf167918, v38
	s_delay_alu instid0(VALU_DEP_3) | instskip(NEXT) | instid1(VALU_DEP_3)
	v_dual_fmac_f32 v35, 0x3e9e377a, v2 :: v_dual_add_f32 v2, v7, v4
	v_mul_f32_e32 v22, 0xbf167918, v6
	v_dual_sub_f32 v4, v7, v4 :: v_dual_fmac_f32 v29, 0xbf167918, v14
	s_delay_alu instid0(VALU_DEP_4) | instskip(SKIP_1) | instid1(VALU_DEP_3)
	v_dual_sub_f32 v26, v41, v23 :: v_dual_fmac_f32 v27, 0x3e9e377a, v34
	v_dual_mul_f32 v34, 0x3f4f1bbd, v6 :: v_dual_add_f32 v7, v41, v23
	v_fmac_f32_e32 v29, 0x3e9e377a, v1
	v_fmac_f32_e32 v43, 0x3f167918, v14
	s_delay_alu instid0(VALU_DEP_4) | instskip(NEXT) | instid1(VALU_DEP_4)
	v_fmac_f32_e32 v22, 0x3f4f1bbd, v27
	v_fmac_f32_e32 v34, 0x3f167918, v27
	v_mul_f32_e32 v25, 0xbf737871, v35
	v_mul_f32_e32 v35, 0xbe9e377a, v35
	v_fmac_f32_e32 v43, 0x3e9e377a, v1
	v_fmac_f32_e32 v13, 0xbf737871, v45
	v_add_f32_e32 v5, v40, v22
	v_dual_sub_f32 v22, v40, v22 :: v_dual_add_f32 v1, v9, v3
	s_delay_alu instid0(VALU_DEP_3) | instskip(SKIP_1) | instid1(VALU_DEP_2)
	v_dual_add_f32 v6, v42, v34 :: v_dual_fmac_f32 v13, 0x3f167918, v44
	v_dual_add_f32 v14, v33, v37 :: v_dual_sub_f32 v23, v42, v34
	v_dual_fmac_f32 v13, 0x3e9e377a, v36 :: v_dual_mul_f32 v36, 0x3e9e377a, v47
	v_dual_sub_f32 v3, v9, v3 :: v_dual_fmac_f32 v30, 0xbf4f1bbd, v28
	s_delay_alu instid0(VALU_DEP_2) | instskip(NEXT) | instid1(VALU_DEP_3)
	v_fmac_f32_e32 v25, 0xbe9e377a, v13
	v_dual_fmac_f32 v36, 0x3f737871, v46 :: v_dual_fmac_f32 v35, 0x3f737871, v13
	s_delay_alu instid0(VALU_DEP_3) | instskip(NEXT) | instid1(VALU_DEP_2)
	v_add_f32_e32 v13, v31, v30
	v_dual_add_f32 v9, v24, v25 :: v_dual_add_f32 v8, v43, v36
	s_delay_alu instid0(VALU_DEP_3)
	v_dual_add_f32 v10, v29, v35 :: v_dual_sub_f32 v27, v43, v36
	v_sub_f32_e32 v28, v24, v25
	v_dual_sub_f32 v24, v31, v30 :: v_dual_sub_f32 v29, v29, v35
	v_sub_f32_e32 v25, v33, v37
	ds_store_2addr_b64 v11, v[1:2], v[5:6] offset1:5
	ds_store_2addr_b64 v11, v[7:8], v[9:10] offset0:10 offset1:15
	ds_store_2addr_b64 v11, v[13:14], v[3:4] offset0:20 offset1:25
	ds_store_2addr_b64 v11, v[22:23], v[26:27] offset0:30 offset1:35
	ds_store_2addr_b64 v11, v[28:29], v[24:25] offset0:40 offset1:45
	global_wb scope:SCOPE_SE
	s_wait_dscnt 0x0
	s_barrier_signal -1
	s_barrier_wait -1
	global_inv scope:SCOPE_SE
	ds_load_2addr_b64 v[4:7], v32 offset1:135
	ds_load_2addr_b64 v[0:3], v0 offset0:14 offset1:194
	ds_load_2addr_b64 v[8:11], v15 offset0:4 offset1:139
	;; [unrolled: 1-line block ×3, first 2 shown]
	ds_load_b64 v[22:23], v32 offset:9360
                                        ; implicit-def: $vgpr27
                                        ; implicit-def: $vgpr29
	s_and_saveexec_b32 s1, s0
	s_cbranch_execz .LBB0_21
; %bb.20:
	ds_load_b64 v[24:25], v32 offset:3240
	ds_load_b64 v[28:29], v32 offset:6840
	;; [unrolled: 1-line block ×3, first 2 shown]
.LBB0_21:
	s_wait_alu 0xfffe
	s_or_b32 exec_lo, exec_lo, s1
	v_mul_lo_u16 v19, v19, 41
	v_add_nc_u32_e32 v33, 0x10e, v18
	s_delay_alu instid0(VALU_DEP_2) | instskip(SKIP_1) | instid1(VALU_DEP_3)
	v_lshrrev_b16 v31, 11, v19
	v_add_nc_u32_e32 v19, 0x195, v18
	v_lshrrev_b16 v36, 1, v33
	s_delay_alu instid0(VALU_DEP_3) | instskip(NEXT) | instid1(VALU_DEP_3)
	v_mul_lo_u16 v35, v31, 50
	v_lshrrev_b16 v37, 1, v19
	s_delay_alu instid0(VALU_DEP_3) | instskip(NEXT) | instid1(VALU_DEP_3)
	v_and_b32_e32 v36, 0xffff, v36
	v_sub_nc_u16 v38, v18, v35
	s_delay_alu instid0(VALU_DEP_3) | instskip(NEXT) | instid1(VALU_DEP_3)
	v_and_b32_e32 v35, 0xffff, v37
	v_mul_u32_u24_e32 v37, 0x147b, v36
	s_delay_alu instid0(VALU_DEP_3) | instskip(NEXT) | instid1(VALU_DEP_2)
	v_and_b32_e32 v53, 0xff, v38
	v_lshrrev_b32_e32 v55, 17, v37
	s_delay_alu instid0(VALU_DEP_2) | instskip(NEXT) | instid1(VALU_DEP_2)
	v_lshlrev_b32_e32 v38, 4, v53
	v_mul_lo_u16 v42, v55, 50
	v_mul_u32_u24_e32 v55, 0x4b0, v55
	global_load_b128 v[37:40], v38, s[8:9] offset:360
	v_add_nc_u32_e32 v34, 0x87, v18
	v_sub_nc_u16 v42, v33, v42
	s_delay_alu instid0(VALU_DEP_2) | instskip(NEXT) | instid1(VALU_DEP_2)
	v_lshrrev_b16 v30, 1, v34
	v_and_b32_e32 v57, 0xffff, v42
	s_delay_alu instid0(VALU_DEP_2) | instskip(NEXT) | instid1(VALU_DEP_2)
	v_and_b32_e32 v30, 0xffff, v30
	v_lshlrev_b32_e32 v45, 4, v57
	s_delay_alu instid0(VALU_DEP_2) | instskip(NEXT) | instid1(VALU_DEP_1)
	v_mul_u32_u24_e32 v30, 0x147b, v30
	v_lshrrev_b32_e32 v54, 17, v30
	s_delay_alu instid0(VALU_DEP_1) | instskip(SKIP_1) | instid1(VALU_DEP_2)
	v_mul_lo_u16 v41, v54, 50
	v_mul_u32_u24_e32 v54, 0x4b0, v54
	v_sub_nc_u16 v41, v34, v41
	s_delay_alu instid0(VALU_DEP_1) | instskip(NEXT) | instid1(VALU_DEP_1)
	v_and_b32_e32 v56, 0xffff, v41
	v_lshlrev_b32_e32 v41, 4, v56
	global_load_b128 v[41:44], v41, s[8:9] offset:360
	s_wait_loadcnt_dscnt 0x102
	v_mul_f32_e32 v58, v40, v9
	v_mul_f32_e32 v40, v40, v8
	s_delay_alu instid0(VALU_DEP_2) | instskip(SKIP_1) | instid1(VALU_DEP_2)
	v_dual_fmac_f32 v58, v39, v8 :: v_dual_and_b32 v31, 0xffff, v31
	v_lshlrev_b32_e32 v53, 3, v53
	v_mul_u32_u24_e32 v31, 0x4b0, v31
	s_delay_alu instid0(VALU_DEP_1) | instskip(SKIP_4) | instid1(VALU_DEP_3)
	v_add3_u32 v31, 0, v31, v53
	v_lshlrev_b32_e32 v53, 3, v56
	v_dual_mul_f32 v57, v38, v3 :: v_dual_lshlrev_b32 v56, 3, v57
	v_mul_f32_e32 v38, v38, v2
	v_mul_u32_u24_e32 v30, 0x147b, v35
	v_fmac_f32_e32 v57, v37, v2
	s_delay_alu instid0(VALU_DEP_3) | instskip(NEXT) | instid1(VALU_DEP_3)
	v_fma_f32 v2, v37, v3, -v38
	v_lshrrev_b32_e32 v30, 17, v30
	v_add3_u32 v38, 0, v55, v56
	v_fma_f32 v3, v39, v9, -v40
	v_add3_u32 v37, 0, v54, v53
	v_add_f32_e32 v40, v5, v2
	v_mul_lo_u16 v30, v30, 50
	v_dual_add_f32 v8, v4, v57 :: v_dual_add_f32 v9, v57, v58
	v_dual_add_f32 v53, v2, v3 :: v_dual_sub_f32 v54, v57, v58
	s_delay_alu instid0(VALU_DEP_3) | instskip(SKIP_1) | instid1(VALU_DEP_4)
	v_sub_nc_u16 v30, v19, v30
	v_sub_f32_e32 v39, v2, v3
	v_fma_f32 v4, -0.5, v9, v4
	s_delay_alu instid0(VALU_DEP_4) | instskip(NEXT) | instid1(VALU_DEP_4)
	v_fma_f32 v5, -0.5, v53, v5
	v_dual_add_f32 v3, v40, v3 :: v_dual_and_b32 v30, 0xffff, v30
	s_delay_alu instid0(VALU_DEP_2)
	v_fmamk_f32 v9, v54, 0x3f5db3d7, v5
	v_fmac_f32_e32 v5, 0xbf5db3d7, v54
	s_wait_loadcnt_dscnt 0x1
	v_mul_f32_e32 v55, v42, v13
	v_dual_mul_f32 v56, v44, v11 :: v_dual_lshlrev_b32 v49, 4, v30
	s_clause 0x1
	global_load_b128 v[45:48], v45, s[8:9] offset:360
	global_load_b128 v[49:52], v49, s[8:9] offset:360
	v_mul_f32_e32 v42, v42, v12
	v_dual_mul_f32 v44, v44, v10 :: v_dual_fmac_f32 v55, v41, v12
	v_fmac_f32_e32 v56, v43, v10
	global_wb scope:SCOPE_SE
	s_wait_loadcnt_dscnt 0x0
	v_fma_f32 v12, v41, v13, -v42
	v_fma_f32 v10, v43, v11, -v44
	s_barrier_signal -1
	s_barrier_wait -1
	global_inv scope:SCOPE_SE
	v_mul_f32_e32 v57, v46, v15
	v_dual_mul_f32 v46, v46, v14 :: v_dual_mul_f32 v59, v48, v23
	v_mul_f32_e32 v60, v29, v50
	v_dual_mul_f32 v48, v48, v22 :: v_dual_mul_f32 v61, v27, v52
	v_mul_f32_e32 v50, v28, v50
	v_mul_f32_e32 v52, v26, v52
	v_add_f32_e32 v2, v8, v58
	v_dual_fmac_f32 v57, v45, v14 :: v_dual_fmac_f32 v60, v28, v49
	v_fma_f32 v11, v45, v15, -v46
	v_fma_f32 v13, v47, v23, -v48
	;; [unrolled: 1-line block ×3, first 2 shown]
	v_fmac_f32_e32 v61, v26, v51
	v_fma_f32 v15, v27, v51, -v52
	v_fmac_f32_e32 v59, v47, v22
	v_fmamk_f32 v8, v39, 0xbf5db3d7, v4
	v_fmac_f32_e32 v4, 0x3f5db3d7, v39
	v_dual_add_f32 v22, v6, v55 :: v_dual_add_f32 v23, v55, v56
	v_dual_sub_f32 v26, v12, v10 :: v_dual_add_f32 v27, v7, v12
	v_dual_add_f32 v12, v12, v10 :: v_dual_add_f32 v39, v57, v59
	v_dual_sub_f32 v40, v11, v13 :: v_dual_add_f32 v41, v1, v11
	v_dual_add_f32 v11, v11, v13 :: v_dual_sub_f32 v42, v57, v59
	v_dual_add_f32 v43, v24, v60 :: v_dual_add_f32 v46, v25, v14
	v_dual_add_f32 v44, v60, v61 :: v_dual_sub_f32 v45, v14, v15
	v_dual_add_f32 v14, v14, v15 :: v_dual_sub_f32 v47, v60, v61
	v_dual_sub_f32 v28, v55, v56 :: v_dual_add_f32 v29, v0, v57
	ds_store_2addr_b64 v31, v[2:3], v[8:9] offset1:50
	ds_store_b64 v31, v[4:5] offset:800
	v_fma_f32 v6, -0.5, v23, v6
	v_fmac_f32_e32 v7, -0.5, v12
	v_dual_add_f32 v5, v41, v13 :: v_dual_fmac_f32 v24, -0.5, v44
	v_fmac_f32_e32 v1, -0.5, v11
	s_delay_alu instid0(VALU_DEP_4)
	v_dual_fmac_f32 v25, -0.5, v14 :: v_dual_fmamk_f32 v8, v26, 0xbf5db3d7, v6
	v_fma_f32 v0, -0.5, v39, v0
	v_dual_add_f32 v2, v22, v56 :: v_dual_add_f32 v3, v27, v10
	v_add_f32_e32 v4, v29, v59
	v_dual_add_f32 v22, v43, v61 :: v_dual_add_f32 v23, v46, v15
	v_dual_fmac_f32 v6, 0x3f5db3d7, v26 :: v_dual_fmamk_f32 v9, v28, 0x3f5db3d7, v7
	v_fmamk_f32 v11, v42, 0x3f5db3d7, v1
	v_dual_fmac_f32 v1, 0xbf5db3d7, v42 :: v_dual_fmamk_f32 v26, v45, 0xbf5db3d7, v24
	v_dual_fmac_f32 v24, 0x3f5db3d7, v45 :: v_dual_fmamk_f32 v27, v47, 0x3f5db3d7, v25
	v_fmac_f32_e32 v25, 0xbf5db3d7, v47
	v_dual_fmac_f32 v7, 0xbf5db3d7, v28 :: v_dual_fmamk_f32 v10, v40, 0xbf5db3d7, v0
	v_fmac_f32_e32 v0, 0x3f5db3d7, v40
	ds_store_2addr_b64 v37, v[2:3], v[8:9] offset1:50
	ds_store_b64 v37, v[6:7] offset:800
	ds_store_2addr_b64 v38, v[4:5], v[10:11] offset1:50
	ds_store_b64 v38, v[0:1] offset:800
	s_and_saveexec_b32 s1, s0
	s_cbranch_execz .LBB0_23
; %bb.22:
	v_lshl_add_u32 v0, v30, 3, 0
	s_delay_alu instid0(VALU_DEP_1)
	v_add_nc_u32_e32 v1, 0x2000, v0
	ds_store_2addr_b64 v1, v[22:23], v[26:27] offset0:176 offset1:226
	ds_store_b64 v0, v[24:25] offset:10400
.LBB0_23:
	s_wait_alu 0xfffe
	s_or_b32 exec_lo, exec_lo, s1
	v_add_nc_u32_e32 v0, 0x800, v32
	v_add_nc_u32_e32 v8, 0x1c00, v32
	;; [unrolled: 1-line block ×3, first 2 shown]
	global_wb scope:SCOPE_SE
	s_wait_dscnt 0x0
	s_barrier_signal -1
	s_barrier_wait -1
	global_inv scope:SCOPE_SE
	ds_load_2addr_b64 v[4:7], v32 offset1:135
	ds_load_2addr_b64 v[0:3], v0 offset0:14 offset1:194
	ds_load_2addr_b64 v[12:15], v8 offset0:4 offset1:139
	;; [unrolled: 1-line block ×3, first 2 shown]
	ds_load_b64 v[30:31], v32 offset:9360
	s_and_saveexec_b32 s1, s0
	s_cbranch_execz .LBB0_25
; %bb.24:
	ds_load_b64 v[22:23], v32 offset:3240
	ds_load_b64 v[26:27], v32 offset:6840
	;; [unrolled: 1-line block ×3, first 2 shown]
.LBB0_25:
	s_wait_alu 0xfffe
	s_or_b32 exec_lo, exec_lo, s1
	v_dual_mov_b32 v37, 0 :: v_dual_add_nc_u32 v28, -15, v18
	v_cmp_gt_u32_e64 s1, 15, v18
	v_mul_u32_u24_e32 v29, 0xda75, v36
	v_lshlrev_b32_e32 v36, 1, v18
	v_mul_u32_u24_e32 v35, 0xda75, v35
	s_wait_alu 0xf1ff
	v_cndmask_b32_e64 v52, v28, v34, s1
	v_lshrrev_b32_e32 v53, 22, v29
	v_lshlrev_b64_e32 v[28:29], 3, v[36:37]
	v_lshrrev_b32_e32 v35, 22, v35
	s_delay_alu instid0(VALU_DEP_4) | instskip(NEXT) | instid1(VALU_DEP_4)
	v_lshlrev_b32_e32 v36, 1, v52
	v_mul_lo_u16 v38, 0x96, v53
	v_mul_u32_u24_e32 v53, 0xe10, v53
	v_add_co_u32 v28, s1, s8, v28
	s_delay_alu instid0(VALU_DEP_4) | instskip(SKIP_4) | instid1(VALU_DEP_4)
	v_lshlrev_b64_e32 v[40:41], 3, v[36:37]
	s_wait_alu 0xf1ff
	v_add_co_ci_u32_e64 v29, s1, s9, v29, s1
	v_sub_nc_u16 v42, v33, v38
	v_mul_lo_u16 v35, 0x96, v35
	v_add_co_u32 v40, s1, s8, v40
	global_load_b128 v[36:39], v[28:29], off offset:1160
	s_wait_alu 0xf1ff
	v_add_co_ci_u32_e64 v41, s1, s9, v41, s1
	v_and_b32_e32 v54, 0xffff, v42
	v_cmp_lt_u32_e64 s1, 14, v18
	v_sub_nc_u16 v35, v19, v35
	global_load_b128 v[40:43], v[40:41], off offset:1160
	v_lshlrev_b32_e32 v52, 3, v52
	s_wait_alu 0xf1ff
	v_cndmask_b32_e64 v55, 0, 0xe10, s1
	v_and_b32_e32 v35, 0xffff, v35
	s_delay_alu instid0(VALU_DEP_2) | instskip(SKIP_4) | instid1(VALU_DEP_3)
	v_add3_u32 v52, 0, v55, v52
	s_wait_loadcnt_dscnt 0x102
	v_dual_mul_f32 v56, v39, v13 :: v_dual_mul_f32 v55, v37, v3
	v_mul_f32_e32 v37, v37, v2
	v_dual_mul_f32 v39, v39, v12 :: v_dual_lshlrev_b32 v44, 4, v54
	v_dual_fmac_f32 v55, v36, v2 :: v_dual_lshlrev_b32 v48, 4, v35
	s_delay_alu instid0(VALU_DEP_3) | instskip(NEXT) | instid1(VALU_DEP_3)
	v_fma_f32 v2, v36, v3, -v37
	v_fma_f32 v3, v38, v13, -v39
	s_wait_loadcnt_dscnt 0x1
	v_mul_f32_e32 v13, v41, v8
	s_clause 0x1
	global_load_b128 v[44:47], v44, s[8:9] offset:1160
	global_load_b128 v[48:51], v48, s[8:9] offset:1160
	v_fmac_f32_e32 v56, v38, v12
	v_mul_f32_e32 v36, v43, v15
	v_mul_f32_e32 v37, v43, v14
	v_add_f32_e32 v43, v5, v2
	s_delay_alu instid0(VALU_DEP_4) | instskip(SKIP_2) | instid1(VALU_DEP_3)
	v_dual_add_f32 v39, v55, v56 :: v_dual_lshlrev_b32 v54, 3, v54
	v_dual_mul_f32 v12, v41, v9 :: v_dual_sub_f32 v41, v2, v3
	v_dual_add_f32 v38, v4, v55 :: v_dual_sub_f32 v55, v55, v56
	v_add3_u32 v53, 0, v53, v54
	v_add_f32_e32 v54, v2, v3
	v_fma_f32 v13, v40, v9, -v13
	v_fma_f32 v4, -0.5, v39, v4
	v_dual_add_f32 v2, v38, v56 :: v_dual_add_f32 v3, v43, v3
	global_wb scope:SCOPE_SE
	s_wait_loadcnt_dscnt 0x0
	s_barrier_signal -1
	s_barrier_wait -1
	global_inv scope:SCOPE_SE
	v_fmac_f32_e32 v12, v40, v8
	v_fmamk_f32 v8, v41, 0xbf5db3d7, v4
	v_mul_f32_e32 v57, v45, v11
	v_dual_mul_f32 v45, v45, v10 :: v_dual_mul_f32 v58, v47, v31
	v_mul_f32_e32 v47, v47, v30
	v_dual_mul_f32 v59, v27, v49 :: v_dual_mul_f32 v60, v25, v51
	v_mul_f32_e32 v49, v26, v49
	v_dual_mul_f32 v51, v24, v51 :: v_dual_fmac_f32 v36, v42, v14
	v_fma_f32 v14, v42, v15, -v37
	v_fma_f32 v5, -0.5, v54, v5
	v_fmac_f32_e32 v57, v44, v10
	v_fma_f32 v10, v44, v11, -v45
	v_fmac_f32_e32 v58, v46, v30
	v_fma_f32 v15, v46, v31, -v47
	v_fmamk_f32 v9, v55, 0x3f5db3d7, v5
	v_dual_fmac_f32 v59, v26, v48 :: v_dual_fmac_f32 v60, v24, v50
	v_fma_f32 v11, v27, v48, -v49
	v_fma_f32 v25, v25, v50, -v51
	v_dual_fmac_f32 v4, 0x3f5db3d7, v41 :: v_dual_sub_f32 v27, v13, v14
	v_add_f32_e32 v26, v12, v36
	v_dual_add_f32 v30, v7, v13 :: v_dual_add_f32 v37, v57, v58
	v_dual_add_f32 v13, v13, v14 :: v_dual_add_f32 v40, v10, v15
	v_dual_sub_f32 v41, v57, v58 :: v_dual_add_f32 v42, v22, v59
	v_add_f32_e32 v43, v59, v60
	v_dual_add_f32 v46, v11, v25 :: v_dual_fmac_f32 v5, 0xbf5db3d7, v55
	v_add_f32_e32 v24, v6, v12
	v_dual_sub_f32 v12, v12, v36 :: v_dual_add_f32 v39, v1, v10
	v_dual_add_f32 v31, v0, v57 :: v_dual_sub_f32 v38, v10, v15
	v_sub_f32_e32 v44, v11, v25
	s_delay_alu instid0(VALU_DEP_4)
	v_dual_add_f32 v45, v23, v11 :: v_dual_add_f32 v10, v24, v36
	v_dual_sub_f32 v47, v59, v60 :: v_dual_fmac_f32 v22, -0.5, v43
	v_fma_f32 v6, -0.5, v26, v6
	v_fmac_f32_e32 v7, -0.5, v13
	v_fmac_f32_e32 v1, -0.5, v40
	;; [unrolled: 1-line block ×3, first 2 shown]
	v_fma_f32 v0, -0.5, v37, v0
	v_add_f32_e32 v11, v30, v14
	ds_store_2addr_b64 v32, v[2:3], v[8:9] offset1:150
	ds_store_b64 v32, v[4:5] offset:2400
	v_add_f32_e32 v2, v31, v58
	v_dual_add_f32 v3, v39, v15 :: v_dual_add_f32 v24, v42, v60
	v_dual_add_f32 v25, v45, v25 :: v_dual_fmamk_f32 v4, v27, 0xbf5db3d7, v6
	v_dual_fmac_f32 v6, 0x3f5db3d7, v27 :: v_dual_fmamk_f32 v5, v12, 0x3f5db3d7, v7
	v_fmamk_f32 v9, v41, 0x3f5db3d7, v1
	v_dual_fmac_f32 v1, 0xbf5db3d7, v41 :: v_dual_fmamk_f32 v26, v44, 0xbf5db3d7, v22
	v_dual_fmac_f32 v22, 0x3f5db3d7, v44 :: v_dual_fmamk_f32 v27, v47, 0x3f5db3d7, v23
	v_fmac_f32_e32 v23, 0xbf5db3d7, v47
	v_dual_fmac_f32 v7, 0xbf5db3d7, v12 :: v_dual_fmamk_f32 v8, v38, 0xbf5db3d7, v0
	v_fmac_f32_e32 v0, 0x3f5db3d7, v38
	ds_store_2addr_b64 v52, v[10:11], v[4:5] offset1:150
	ds_store_b64 v52, v[6:7] offset:2400
	ds_store_2addr_b64 v53, v[2:3], v[8:9] offset1:150
	ds_store_b64 v53, v[0:1] offset:2400
	s_and_saveexec_b32 s1, s0
	s_cbranch_execz .LBB0_27
; %bb.26:
	v_lshl_add_u32 v0, v35, 3, 0
	s_delay_alu instid0(VALU_DEP_1)
	v_add_nc_u32_e32 v1, 0x1c00, v0
	ds_store_2addr_b64 v1, v[24:25], v[26:27] offset0:4 offset1:154
	ds_store_b64 v0, v[22:23] offset:9600
.LBB0_27:
	s_wait_alu 0xfffe
	s_or_b32 exec_lo, exec_lo, s1
	v_add_nc_u32_e32 v35, 0x800, v32
	v_add_nc_u32_e32 v37, 0x1c00, v32
	;; [unrolled: 1-line block ×3, first 2 shown]
	global_wb scope:SCOPE_SE
	s_wait_dscnt 0x0
	s_barrier_signal -1
	s_barrier_wait -1
	global_inv scope:SCOPE_SE
	ds_load_2addr_b64 v[4:7], v32 offset1:135
	ds_load_2addr_b64 v[0:3], v35 offset0:14 offset1:194
	ds_load_2addr_b64 v[12:15], v37 offset0:4 offset1:139
	ds_load_2addr_b64 v[8:11], v36 offset0:73 offset1:208
	ds_load_b64 v[30:31], v32 offset:9360
	s_and_saveexec_b32 s1, s0
	s_cbranch_execz .LBB0_29
; %bb.28:
	ds_load_b64 v[24:25], v32 offset:3240
	ds_load_b64 v[26:27], v32 offset:6840
	;; [unrolled: 1-line block ×3, first 2 shown]
.LBB0_29:
	s_wait_alu 0xfffe
	s_or_b32 exec_lo, exec_lo, s1
	global_load_b128 v[38:41], v[28:29], off offset:3560
	v_dual_mov_b32 v29, 0 :: v_dual_lshlrev_b32 v28, 1, v34
	s_delay_alu instid0(VALU_DEP_1) | instskip(SKIP_1) | instid1(VALU_DEP_1)
	v_lshlrev_b64_e32 v[42:43], 3, v[28:29]
	v_lshlrev_b32_e32 v28, 1, v33
	v_lshlrev_b64_e32 v[46:47], 3, v[28:29]
	s_delay_alu instid0(VALU_DEP_3) | instskip(SKIP_1) | instid1(VALU_DEP_4)
	v_add_co_u32 v33, s1, s8, v42
	s_wait_alu 0xf1ff
	v_add_co_ci_u32_e64 v34, s1, s9, v43, s1
	global_load_b128 v[42:45], v[33:34], off offset:3560
	v_add_co_u32 v33, s1, s8, v46
	s_wait_alu 0xf1ff
	v_add_co_ci_u32_e64 v34, s1, s9, v47, s1
	global_load_b128 v[46:49], v[33:34], off offset:3560
	global_wb scope:SCOPE_SE
	s_wait_loadcnt_dscnt 0x0
	s_barrier_signal -1
	s_barrier_wait -1
	global_inv scope:SCOPE_SE
	v_mul_f32_e32 v33, v39, v2
	v_dual_mul_f32 v28, v39, v3 :: v_dual_mul_f32 v39, v41, v12
	s_delay_alu instid0(VALU_DEP_1) | instskip(NEXT) | instid1(VALU_DEP_3)
	v_fmac_f32_e32 v28, v38, v2
	v_fma_f32 v2, v38, v3, -v33
	s_delay_alu instid0(VALU_DEP_3) | instskip(SKIP_1) | instid1(VALU_DEP_2)
	v_fma_f32 v3, v40, v13, -v39
	v_mul_f32_e32 v34, v41, v13
	v_dual_add_f32 v38, v5, v2 :: v_dual_sub_f32 v33, v2, v3
	s_delay_alu instid0(VALU_DEP_2) | instskip(NEXT) | instid1(VALU_DEP_2)
	v_dual_fmac_f32 v34, v40, v12 :: v_dual_add_f32 v39, v2, v3
	v_add_f32_e32 v3, v38, v3
	s_delay_alu instid0(VALU_DEP_2) | instskip(SKIP_1) | instid1(VALU_DEP_4)
	v_fma_f32 v5, -0.5, v39, v5
	v_dual_mul_f32 v39, v45, v15 :: v_dual_add_f32 v12, v4, v28
	v_dual_add_f32 v13, v28, v34 :: v_dual_mul_f32 v38, v43, v8
	s_delay_alu instid0(VALU_DEP_2) | instskip(SKIP_1) | instid1(VALU_DEP_4)
	v_fmac_f32_e32 v39, v44, v14
	v_sub_f32_e32 v28, v28, v34
	v_add_f32_e32 v2, v12, v34
	v_mul_f32_e32 v34, v43, v9
	v_fma_f32 v4, -0.5, v13, v4
	s_delay_alu instid0(VALU_DEP_2) | instskip(NEXT) | instid1(VALU_DEP_2)
	v_fmac_f32_e32 v34, v42, v8
	v_fmamk_f32 v12, v33, 0xbf5db3d7, v4
	v_fma_f32 v8, v42, v9, -v38
	v_mul_f32_e32 v9, v47, v10
	v_mul_f32_e32 v40, v45, v14
	;; [unrolled: 1-line block ×3, first 2 shown]
	v_dual_fmac_f32 v4, 0x3f5db3d7, v33 :: v_dual_mul_f32 v33, v49, v30
	s_delay_alu instid0(VALU_DEP_3) | instskip(NEXT) | instid1(VALU_DEP_3)
	v_fma_f32 v15, v44, v15, -v40
	v_fmac_f32_e32 v14, v46, v10
	v_fma_f32 v10, v46, v11, -v9
	v_add_f32_e32 v11, v34, v39
	v_fmamk_f32 v13, v28, 0x3f5db3d7, v5
	v_dual_fmac_f32 v5, 0xbf5db3d7, v28 :: v_dual_mul_f32 v28, v49, v31
	v_add_f32_e32 v9, v6, v34
	s_delay_alu instid0(VALU_DEP_4) | instskip(NEXT) | instid1(VALU_DEP_3)
	v_fma_f32 v6, -0.5, v11, v6
	v_fmac_f32_e32 v28, v48, v30
	v_fma_f32 v30, v48, v31, -v33
	v_dual_add_f32 v33, v7, v8 :: v_dual_add_f32 v38, v8, v15
	v_sub_f32_e32 v31, v8, v15
	v_add_f32_e32 v8, v9, v39
	s_delay_alu instid0(VALU_DEP_3) | instskip(NEXT) | instid1(VALU_DEP_4)
	v_dual_add_f32 v40, v10, v30 :: v_dual_add_f32 v9, v33, v15
	v_dual_sub_f32 v34, v34, v39 :: v_dual_fmac_f32 v7, -0.5, v38
	v_add_f32_e32 v39, v1, v10
	s_delay_alu instid0(VALU_DEP_3) | instskip(SKIP_1) | instid1(VALU_DEP_4)
	v_fmac_f32_e32 v1, -0.5, v40
	v_add_f32_e32 v15, v0, v14
	v_fmamk_f32 v11, v34, 0x3f5db3d7, v7
	v_add_f32_e32 v33, v14, v28
	v_sub_f32_e32 v41, v14, v28
	v_sub_f32_e32 v38, v10, v30
	v_fmamk_f32 v10, v31, 0xbf5db3d7, v6
	v_fmac_f32_e32 v6, 0x3f5db3d7, v31
	v_fma_f32 v0, -0.5, v33, v0
	v_fmamk_f32 v31, v41, 0x3f5db3d7, v1
	v_dual_fmac_f32 v7, 0xbf5db3d7, v34 :: v_dual_add_f32 v14, v15, v28
	s_delay_alu instid0(VALU_DEP_3)
	v_dual_add_f32 v15, v39, v30 :: v_dual_fmamk_f32 v30, v38, 0xbf5db3d7, v0
	v_fmac_f32_e32 v0, 0x3f5db3d7, v38
	v_fmac_f32_e32 v1, 0xbf5db3d7, v41
	ds_store_2addr_b64 v32, v[2:3], v[8:9] offset1:135
	ds_store_2addr_b64 v37, v[4:5], v[6:7] offset0:4 offset1:139
	ds_store_2addr_b64 v35, v[14:15], v[12:13] offset0:14 offset1:194
	;; [unrolled: 1-line block ×3, first 2 shown]
	ds_store_b64 v32, v[0:1] offset:9360
	s_and_saveexec_b32 s1, s0
	s_cbranch_execz .LBB0_31
; %bb.30:
	v_subrev_nc_u32_e32 v0, 45, v18
	s_delay_alu instid0(VALU_DEP_1) | instskip(NEXT) | instid1(VALU_DEP_1)
	v_cndmask_b32_e64 v0, v0, v19, s0
	v_lshlrev_b32_e32 v28, 1, v0
	s_delay_alu instid0(VALU_DEP_1) | instskip(NEXT) | instid1(VALU_DEP_1)
	v_lshlrev_b64_e32 v[0:1], 3, v[28:29]
	v_add_co_u32 v0, s0, s8, v0
	s_wait_alu 0xf1ff
	s_delay_alu instid0(VALU_DEP_2) | instskip(SKIP_4) | instid1(VALU_DEP_1)
	v_add_co_ci_u32_e64 v1, s0, s9, v1, s0
	global_load_b128 v[0:3], v[0:1], off offset:3560
	s_wait_loadcnt 0x0
	v_mul_f32_e32 v5, v22, v3
	v_mul_f32_e32 v6, v23, v3
	v_fmac_f32_e32 v6, v22, v2
	v_mul_f32_e32 v4, v26, v1
	v_mul_f32_e32 v1, v27, v1
	s_delay_alu instid0(VALU_DEP_1) | instskip(NEXT) | instid1(VALU_DEP_1)
	v_fmac_f32_e32 v1, v26, v0
	v_sub_f32_e32 v7, v1, v6
	s_delay_alu instid0(VALU_DEP_4) | instskip(SKIP_1) | instid1(VALU_DEP_1)
	v_fma_f32 v3, v27, v0, -v4
	v_fma_f32 v4, v23, v2, -v5
	v_dual_add_f32 v5, v25, v3 :: v_dual_add_f32 v0, v3, v4
	v_dual_add_f32 v2, v1, v6 :: v_dual_sub_f32 v9, v3, v4
	s_delay_alu instid0(VALU_DEP_2) | instskip(NEXT) | instid1(VALU_DEP_3)
	v_dual_add_f32 v8, v24, v1 :: v_dual_add_f32 v3, v5, v4
	v_fma_f32 v1, -0.5, v0, v25
	s_delay_alu instid0(VALU_DEP_3) | instskip(NEXT) | instid1(VALU_DEP_2)
	v_fma_f32 v0, -0.5, v2, v24
	v_dual_add_f32 v2, v8, v6 :: v_dual_fmamk_f32 v5, v7, 0xbf5db3d7, v1
	s_delay_alu instid0(VALU_DEP_2)
	v_dual_fmac_f32 v1, 0x3f5db3d7, v7 :: v_dual_fmamk_f32 v4, v9, 0x3f5db3d7, v0
	v_fmac_f32_e32 v0, 0xbf5db3d7, v9
	ds_store_b64 v32, v[2:3] offset:3240
	ds_store_b64 v32, v[0:1] offset:6840
	ds_store_b64 v32, v[4:5] offset:10440
.LBB0_31:
	s_wait_alu 0xfffe
	s_or_b32 exec_lo, exec_lo, s1
	global_wb scope:SCOPE_SE
	s_wait_dscnt 0x0
	s_barrier_signal -1
	s_barrier_wait -1
	global_inv scope:SCOPE_SE
	s_and_saveexec_b32 s0, vcc_lo
	s_cbranch_execz .LBB0_33
; %bb.32:
	v_mul_lo_u32 v0, s3, v20
	v_mul_lo_u32 v1, s2, v21
	v_mad_co_u64_u32 v[4:5], null, s2, v20, 0
	v_dual_mov_b32 v19, 0 :: v_dual_add_nc_u32 v8, 0x87, v18
	v_lshl_add_u32 v22, v18, 3, 0
	v_lshlrev_b64_e32 v[6:7], 3, v[16:17]
	s_delay_alu instid0(VALU_DEP_3) | instskip(SKIP_1) | instid1(VALU_DEP_4)
	v_dual_mov_b32 v9, v19 :: v_dual_add_nc_u32 v10, 0x10e, v18
	v_add3_u32 v5, v5, v1, v0
	v_dual_mov_b32 v11, v19 :: v_dual_add_nc_u32 v14, 0x800, v22
	ds_load_2addr_b64 v[0:3], v22 offset1:135
	v_lshlrev_b64_e32 v[12:13], 3, v[18:19]
	v_lshlrev_b64_e32 v[4:5], 3, v[4:5]
	;; [unrolled: 1-line block ×4, first 2 shown]
	v_dual_mov_b32 v17, v19 :: v_dual_add_nc_u32 v16, 0x21c, v18
	v_add_nc_u32_e32 v20, 0x1000, v22
	v_add_co_u32 v4, vcc_lo, s6, v4
	s_wait_alu 0xfffd
	v_add_co_ci_u32_e32 v5, vcc_lo, s7, v5, vcc_lo
	v_lshlrev_b64_e32 v[16:17], 3, v[16:17]
	s_delay_alu instid0(VALU_DEP_3) | instskip(SKIP_1) | instid1(VALU_DEP_3)
	v_add_co_u32 v24, vcc_lo, v4, v6
	s_wait_alu 0xfffd
	v_add_co_ci_u32_e32 v25, vcc_lo, v5, v7, vcc_lo
	ds_load_2addr_b64 v[4:7], v14 offset0:14 offset1:149
	v_dual_mov_b32 v15, v19 :: v_dual_add_nc_u32 v14, 0x195, v18
	v_add_co_u32 v12, vcc_lo, v24, v12
	s_wait_alu 0xfffd
	v_add_co_ci_u32_e32 v13, vcc_lo, v25, v13, vcc_lo
	v_add_co_u32 v8, vcc_lo, v24, v8
	v_lshlrev_b64_e32 v[14:15], 3, v[14:15]
	s_wait_alu 0xfffd
	v_add_co_ci_u32_e32 v9, vcc_lo, v25, v9, vcc_lo
	v_add_co_u32 v10, vcc_lo, v24, v10
	s_wait_alu 0xfffd
	v_add_co_ci_u32_e32 v11, vcc_lo, v25, v11, vcc_lo
	v_add_co_u32 v14, vcc_lo, v24, v14
	s_wait_alu 0xfffd
	v_add_co_ci_u32_e32 v15, vcc_lo, v25, v15, vcc_lo
	s_wait_dscnt 0x1
	s_clause 0x1
	global_store_b64 v[12:13], v[0:1], off
	global_store_b64 v[8:9], v[2:3], off
	s_wait_dscnt 0x0
	s_clause 0x1
	global_store_b64 v[10:11], v[4:5], off
	global_store_b64 v[14:15], v[6:7], off
	v_dual_mov_b32 v9, v19 :: v_dual_add_nc_u32 v4, 0x2a3, v18
	v_dual_mov_b32 v5, v19 :: v_dual_add_nc_u32 v8, 0x32a, v18
	;; [unrolled: 1-line block ×3, first 2 shown]
	v_add_co_u32 v12, vcc_lo, v24, v16
	s_delay_alu instid0(VALU_DEP_3) | instskip(NEXT) | instid1(VALU_DEP_4)
	v_lshlrev_b64_e32 v[4:5], 3, v[4:5]
	v_lshlrev_b64_e32 v[8:9], 3, v[8:9]
	v_dual_mov_b32 v21, v19 :: v_dual_add_nc_u32 v6, 0x1800, v22
	s_wait_alu 0xfffd
	v_add_co_ci_u32_e32 v13, vcc_lo, v25, v17, vcc_lo
	s_delay_alu instid0(VALU_DEP_4)
	v_add_co_u32 v14, vcc_lo, v24, v4
	v_lshlrev_b64_e32 v[16:17], 3, v[10:11]
	v_add_nc_u32_e32 v10, 0x2000, v22
	ds_load_2addr_b64 v[0:3], v20 offset0:28 offset1:163
	s_wait_alu 0xfffd
	v_add_co_ci_u32_e32 v15, vcc_lo, v25, v5, vcc_lo
	ds_load_2addr_b64 v[4:7], v6 offset0:42 offset1:177
	v_add_co_u32 v22, vcc_lo, v24, v8
	v_add_nc_u32_e32 v20, 0x438, v18
	s_wait_alu 0xfffd
	v_add_co_ci_u32_e32 v23, vcc_lo, v25, v9, vcc_lo
	ds_load_2addr_b64 v[8:11], v10 offset0:56 offset1:191
	v_add_nc_u32_e32 v18, 0x4bf, v18
	v_lshlrev_b64_e32 v[20:21], 3, v[20:21]
	v_add_co_u32 v16, vcc_lo, v24, v16
	s_wait_alu 0xfffd
	v_add_co_ci_u32_e32 v17, vcc_lo, v25, v17, vcc_lo
	v_lshlrev_b64_e32 v[18:19], 3, v[18:19]
	s_delay_alu instid0(VALU_DEP_4) | instskip(SKIP_2) | instid1(VALU_DEP_3)
	v_add_co_u32 v20, vcc_lo, v24, v20
	s_wait_alu 0xfffd
	v_add_co_ci_u32_e32 v21, vcc_lo, v25, v21, vcc_lo
	v_add_co_u32 v18, vcc_lo, v24, v18
	s_wait_alu 0xfffd
	v_add_co_ci_u32_e32 v19, vcc_lo, v25, v19, vcc_lo
	s_wait_dscnt 0x2
	s_clause 0x1
	global_store_b64 v[12:13], v[0:1], off
	global_store_b64 v[14:15], v[2:3], off
	s_wait_dscnt 0x1
	s_clause 0x1
	global_store_b64 v[22:23], v[4:5], off
	global_store_b64 v[16:17], v[6:7], off
	;; [unrolled: 4-line block ×3, first 2 shown]
.LBB0_33:
	s_nop 0
	s_sendmsg sendmsg(MSG_DEALLOC_VGPRS)
	s_endpgm
	.section	.rodata,"a",@progbits
	.p2align	6, 0x0
	.amdhsa_kernel fft_rtc_back_len1350_factors_5_10_3_3_3_wgs_135_tpt_135_halfLds_sp_op_CI_CI_unitstride_sbrr_C2R_dirReg
		.amdhsa_group_segment_fixed_size 0
		.amdhsa_private_segment_fixed_size 0
		.amdhsa_kernarg_size 104
		.amdhsa_user_sgpr_count 2
		.amdhsa_user_sgpr_dispatch_ptr 0
		.amdhsa_user_sgpr_queue_ptr 0
		.amdhsa_user_sgpr_kernarg_segment_ptr 1
		.amdhsa_user_sgpr_dispatch_id 0
		.amdhsa_user_sgpr_private_segment_size 0
		.amdhsa_wavefront_size32 1
		.amdhsa_uses_dynamic_stack 0
		.amdhsa_enable_private_segment 0
		.amdhsa_system_sgpr_workgroup_id_x 1
		.amdhsa_system_sgpr_workgroup_id_y 0
		.amdhsa_system_sgpr_workgroup_id_z 0
		.amdhsa_system_sgpr_workgroup_info 0
		.amdhsa_system_vgpr_workitem_id 0
		.amdhsa_next_free_vgpr 74
		.amdhsa_next_free_sgpr 39
		.amdhsa_reserve_vcc 1
		.amdhsa_float_round_mode_32 0
		.amdhsa_float_round_mode_16_64 0
		.amdhsa_float_denorm_mode_32 3
		.amdhsa_float_denorm_mode_16_64 3
		.amdhsa_fp16_overflow 0
		.amdhsa_workgroup_processor_mode 1
		.amdhsa_memory_ordered 1
		.amdhsa_forward_progress 0
		.amdhsa_round_robin_scheduling 0
		.amdhsa_exception_fp_ieee_invalid_op 0
		.amdhsa_exception_fp_denorm_src 0
		.amdhsa_exception_fp_ieee_div_zero 0
		.amdhsa_exception_fp_ieee_overflow 0
		.amdhsa_exception_fp_ieee_underflow 0
		.amdhsa_exception_fp_ieee_inexact 0
		.amdhsa_exception_int_div_zero 0
	.end_amdhsa_kernel
	.text
.Lfunc_end0:
	.size	fft_rtc_back_len1350_factors_5_10_3_3_3_wgs_135_tpt_135_halfLds_sp_op_CI_CI_unitstride_sbrr_C2R_dirReg, .Lfunc_end0-fft_rtc_back_len1350_factors_5_10_3_3_3_wgs_135_tpt_135_halfLds_sp_op_CI_CI_unitstride_sbrr_C2R_dirReg
                                        ; -- End function
	.section	.AMDGPU.csdata,"",@progbits
; Kernel info:
; codeLenInByte = 8760
; NumSgprs: 41
; NumVgprs: 74
; ScratchSize: 0
; MemoryBound: 0
; FloatMode: 240
; IeeeMode: 1
; LDSByteSize: 0 bytes/workgroup (compile time only)
; SGPRBlocks: 5
; VGPRBlocks: 9
; NumSGPRsForWavesPerEU: 41
; NumVGPRsForWavesPerEU: 74
; Occupancy: 15
; WaveLimiterHint : 1
; COMPUTE_PGM_RSRC2:SCRATCH_EN: 0
; COMPUTE_PGM_RSRC2:USER_SGPR: 2
; COMPUTE_PGM_RSRC2:TRAP_HANDLER: 0
; COMPUTE_PGM_RSRC2:TGID_X_EN: 1
; COMPUTE_PGM_RSRC2:TGID_Y_EN: 0
; COMPUTE_PGM_RSRC2:TGID_Z_EN: 0
; COMPUTE_PGM_RSRC2:TIDIG_COMP_CNT: 0
	.text
	.p2alignl 7, 3214868480
	.fill 96, 4, 3214868480
	.type	__hip_cuid_56a4baa119c34996,@object ; @__hip_cuid_56a4baa119c34996
	.section	.bss,"aw",@nobits
	.globl	__hip_cuid_56a4baa119c34996
__hip_cuid_56a4baa119c34996:
	.byte	0                               ; 0x0
	.size	__hip_cuid_56a4baa119c34996, 1

	.ident	"AMD clang version 19.0.0git (https://github.com/RadeonOpenCompute/llvm-project roc-6.4.0 25133 c7fe45cf4b819c5991fe208aaa96edf142730f1d)"
	.section	".note.GNU-stack","",@progbits
	.addrsig
	.addrsig_sym __hip_cuid_56a4baa119c34996
	.amdgpu_metadata
---
amdhsa.kernels:
  - .args:
      - .actual_access:  read_only
        .address_space:  global
        .offset:         0
        .size:           8
        .value_kind:     global_buffer
      - .offset:         8
        .size:           8
        .value_kind:     by_value
      - .actual_access:  read_only
        .address_space:  global
        .offset:         16
        .size:           8
        .value_kind:     global_buffer
      - .actual_access:  read_only
        .address_space:  global
        .offset:         24
        .size:           8
        .value_kind:     global_buffer
      - .actual_access:  read_only
        .address_space:  global
        .offset:         32
        .size:           8
        .value_kind:     global_buffer
      - .offset:         40
        .size:           8
        .value_kind:     by_value
      - .actual_access:  read_only
        .address_space:  global
        .offset:         48
        .size:           8
        .value_kind:     global_buffer
      - .actual_access:  read_only
        .address_space:  global
        .offset:         56
        .size:           8
        .value_kind:     global_buffer
      - .offset:         64
        .size:           4
        .value_kind:     by_value
      - .actual_access:  read_only
        .address_space:  global
        .offset:         72
        .size:           8
        .value_kind:     global_buffer
      - .actual_access:  read_only
        .address_space:  global
        .offset:         80
        .size:           8
        .value_kind:     global_buffer
      - .actual_access:  read_only
        .address_space:  global
        .offset:         88
        .size:           8
        .value_kind:     global_buffer
      - .actual_access:  write_only
        .address_space:  global
        .offset:         96
        .size:           8
        .value_kind:     global_buffer
    .group_segment_fixed_size: 0
    .kernarg_segment_align: 8
    .kernarg_segment_size: 104
    .language:       OpenCL C
    .language_version:
      - 2
      - 0
    .max_flat_workgroup_size: 135
    .name:           fft_rtc_back_len1350_factors_5_10_3_3_3_wgs_135_tpt_135_halfLds_sp_op_CI_CI_unitstride_sbrr_C2R_dirReg
    .private_segment_fixed_size: 0
    .sgpr_count:     41
    .sgpr_spill_count: 0
    .symbol:         fft_rtc_back_len1350_factors_5_10_3_3_3_wgs_135_tpt_135_halfLds_sp_op_CI_CI_unitstride_sbrr_C2R_dirReg.kd
    .uniform_work_group_size: 1
    .uses_dynamic_stack: false
    .vgpr_count:     74
    .vgpr_spill_count: 0
    .wavefront_size: 32
    .workgroup_processor_mode: 1
amdhsa.target:   amdgcn-amd-amdhsa--gfx1201
amdhsa.version:
  - 1
  - 2
...

	.end_amdgpu_metadata
